;; amdgpu-corpus repo=ROCm/rocFFT kind=compiled arch=gfx950 opt=O3
	.text
	.amdgcn_target "amdgcn-amd-amdhsa--gfx950"
	.amdhsa_code_object_version 6
	.protected	fft_rtc_back_len768_factors_16_3_16_wgs_48_tpt_48_halfLds_sp_ip_CI_unitstride_sbrr_C2R_dirReg ; -- Begin function fft_rtc_back_len768_factors_16_3_16_wgs_48_tpt_48_halfLds_sp_ip_CI_unitstride_sbrr_C2R_dirReg
	.globl	fft_rtc_back_len768_factors_16_3_16_wgs_48_tpt_48_halfLds_sp_ip_CI_unitstride_sbrr_C2R_dirReg
	.p2align	8
	.type	fft_rtc_back_len768_factors_16_3_16_wgs_48_tpt_48_halfLds_sp_ip_CI_unitstride_sbrr_C2R_dirReg,@function
fft_rtc_back_len768_factors_16_3_16_wgs_48_tpt_48_halfLds_sp_ip_CI_unitstride_sbrr_C2R_dirReg: ; @fft_rtc_back_len768_factors_16_3_16_wgs_48_tpt_48_halfLds_sp_ip_CI_unitstride_sbrr_C2R_dirReg
; %bb.0:
	s_load_dwordx2 s[8:9], s[0:1], 0x50
	s_load_dwordx4 s[4:7], s[0:1], 0x0
	s_load_dwordx2 s[10:11], s[0:1], 0x18
	v_mul_u32_u24_e32 v1, 0x556, v0
	v_add_u32_sdwa v6, s2, v1 dst_sel:DWORD dst_unused:UNUSED_PAD src0_sel:DWORD src1_sel:WORD_1
	v_mov_b32_e32 v4, 0
	s_waitcnt lgkmcnt(0)
	v_cmp_lt_u64_e64 s[2:3], s[6:7], 2
	v_mov_b32_e32 v7, v4
	s_and_b64 vcc, exec, s[2:3]
	v_mov_b64_e32 v[2:3], 0
	s_cbranch_vccnz .LBB0_8
; %bb.1:
	s_load_dwordx2 s[2:3], s[0:1], 0x10
	s_add_u32 s12, s10, 8
	s_addc_u32 s13, s11, 0
	s_mov_b64 s[14:15], 1
	v_mov_b64_e32 v[2:3], 0
	s_waitcnt lgkmcnt(0)
	s_add_u32 s16, s2, 8
	s_addc_u32 s17, s3, 0
.LBB0_2:                                ; =>This Inner Loop Header: Depth=1
	s_load_dwordx2 s[18:19], s[16:17], 0x0
                                        ; implicit-def: $vgpr8_vgpr9
	s_waitcnt lgkmcnt(0)
	v_or_b32_e32 v5, s19, v7
	v_cmp_ne_u64_e32 vcc, 0, v[4:5]
	s_and_saveexec_b64 s[2:3], vcc
	s_xor_b64 s[20:21], exec, s[2:3]
	s_cbranch_execz .LBB0_4
; %bb.3:                                ;   in Loop: Header=BB0_2 Depth=1
	v_cvt_f32_u32_e32 v1, s18
	v_cvt_f32_u32_e32 v5, s19
	s_sub_u32 s2, 0, s18
	s_subb_u32 s3, 0, s19
	v_fmac_f32_e32 v1, 0x4f800000, v5
	v_rcp_f32_e32 v1, v1
	s_nop 0
	v_mul_f32_e32 v1, 0x5f7ffffc, v1
	v_mul_f32_e32 v5, 0x2f800000, v1
	v_trunc_f32_e32 v5, v5
	v_fmac_f32_e32 v1, 0xcf800000, v5
	v_cvt_u32_f32_e32 v5, v5
	v_cvt_u32_f32_e32 v1, v1
	v_mul_lo_u32 v8, s2, v5
	v_mul_hi_u32 v10, s2, v1
	v_mul_lo_u32 v9, s3, v1
	v_add_u32_e32 v10, v10, v8
	v_mul_lo_u32 v12, s2, v1
	v_add_u32_e32 v13, v10, v9
	v_mul_hi_u32 v8, v1, v12
	v_mul_hi_u32 v11, v1, v13
	v_mul_lo_u32 v10, v1, v13
	v_mov_b32_e32 v9, v4
	v_lshl_add_u64 v[8:9], v[8:9], 0, v[10:11]
	v_mul_hi_u32 v11, v5, v12
	v_mul_lo_u32 v12, v5, v12
	v_add_co_u32_e32 v8, vcc, v8, v12
	v_mul_hi_u32 v10, v5, v13
	s_nop 0
	v_addc_co_u32_e32 v8, vcc, v9, v11, vcc
	v_mov_b32_e32 v9, v4
	s_nop 0
	v_addc_co_u32_e32 v11, vcc, 0, v10, vcc
	v_mul_lo_u32 v10, v5, v13
	v_lshl_add_u64 v[8:9], v[8:9], 0, v[10:11]
	v_add_co_u32_e32 v1, vcc, v1, v8
	v_mul_lo_u32 v10, s2, v1
	s_nop 0
	v_addc_co_u32_e32 v5, vcc, v5, v9, vcc
	v_mul_lo_u32 v8, s2, v5
	v_mul_hi_u32 v9, s2, v1
	v_add_u32_e32 v8, v9, v8
	v_mul_lo_u32 v9, s3, v1
	v_add_u32_e32 v12, v8, v9
	v_mul_hi_u32 v14, v5, v10
	v_mul_lo_u32 v15, v5, v10
	v_mul_hi_u32 v9, v1, v12
	v_mul_lo_u32 v8, v1, v12
	v_mul_hi_u32 v10, v1, v10
	v_mov_b32_e32 v11, v4
	v_lshl_add_u64 v[8:9], v[10:11], 0, v[8:9]
	v_add_co_u32_e32 v8, vcc, v8, v15
	v_mul_hi_u32 v13, v5, v12
	s_nop 0
	v_addc_co_u32_e32 v8, vcc, v9, v14, vcc
	v_mul_lo_u32 v10, v5, v12
	s_nop 0
	v_addc_co_u32_e32 v11, vcc, 0, v13, vcc
	v_mov_b32_e32 v9, v4
	v_lshl_add_u64 v[8:9], v[8:9], 0, v[10:11]
	v_add_co_u32_e32 v1, vcc, v1, v8
	v_mul_hi_u32 v10, v6, v1
	s_nop 0
	v_addc_co_u32_e32 v5, vcc, v5, v9, vcc
	v_mad_u64_u32 v[8:9], s[2:3], v6, v5, 0
	v_mov_b32_e32 v11, v4
	v_lshl_add_u64 v[8:9], v[10:11], 0, v[8:9]
	v_mad_u64_u32 v[12:13], s[2:3], v7, v1, 0
	v_add_co_u32_e32 v1, vcc, v8, v12
	v_mad_u64_u32 v[10:11], s[2:3], v7, v5, 0
	s_nop 0
	v_addc_co_u32_e32 v8, vcc, v9, v13, vcc
	v_mov_b32_e32 v9, v4
	s_nop 0
	v_addc_co_u32_e32 v11, vcc, 0, v11, vcc
	v_lshl_add_u64 v[8:9], v[8:9], 0, v[10:11]
	v_mul_lo_u32 v1, s19, v8
	v_mul_lo_u32 v5, s18, v9
	v_mad_u64_u32 v[10:11], s[2:3], s18, v8, 0
	v_add3_u32 v1, v11, v5, v1
	v_sub_u32_e32 v5, v7, v1
	v_mov_b32_e32 v11, s19
	v_sub_co_u32_e32 v14, vcc, v6, v10
	v_lshl_add_u64 v[12:13], v[8:9], 0, 1
	s_nop 0
	v_subb_co_u32_e64 v5, s[2:3], v5, v11, vcc
	v_subrev_co_u32_e64 v10, s[2:3], s18, v14
	v_subb_co_u32_e32 v1, vcc, v7, v1, vcc
	s_nop 0
	v_subbrev_co_u32_e64 v5, s[2:3], 0, v5, s[2:3]
	v_cmp_le_u32_e64 s[2:3], s19, v5
	v_cmp_le_u32_e32 vcc, s19, v1
	s_nop 0
	v_cndmask_b32_e64 v11, 0, -1, s[2:3]
	v_cmp_le_u32_e64 s[2:3], s18, v10
	s_nop 1
	v_cndmask_b32_e64 v10, 0, -1, s[2:3]
	v_cmp_eq_u32_e64 s[2:3], s19, v5
	s_nop 1
	v_cndmask_b32_e64 v5, v11, v10, s[2:3]
	v_lshl_add_u64 v[10:11], v[8:9], 0, 2
	v_cmp_ne_u32_e64 s[2:3], 0, v5
	s_nop 1
	v_cndmask_b32_e64 v5, v13, v11, s[2:3]
	v_cndmask_b32_e64 v11, 0, -1, vcc
	v_cmp_le_u32_e32 vcc, s18, v14
	s_nop 1
	v_cndmask_b32_e64 v13, 0, -1, vcc
	v_cmp_eq_u32_e32 vcc, s19, v1
	s_nop 1
	v_cndmask_b32_e32 v1, v11, v13, vcc
	v_cmp_ne_u32_e32 vcc, 0, v1
	v_cndmask_b32_e64 v1, v12, v10, s[2:3]
	s_nop 0
	v_cndmask_b32_e32 v9, v9, v5, vcc
	v_cndmask_b32_e32 v8, v8, v1, vcc
.LBB0_4:                                ;   in Loop: Header=BB0_2 Depth=1
	s_andn2_saveexec_b64 s[2:3], s[20:21]
	s_cbranch_execz .LBB0_6
; %bb.5:                                ;   in Loop: Header=BB0_2 Depth=1
	v_cvt_f32_u32_e32 v1, s18
	s_sub_i32 s20, 0, s18
	v_rcp_iflag_f32_e32 v1, v1
	s_nop 0
	v_mul_f32_e32 v1, 0x4f7ffffe, v1
	v_cvt_u32_f32_e32 v1, v1
	v_mul_lo_u32 v5, s20, v1
	v_mul_hi_u32 v5, v1, v5
	v_add_u32_e32 v1, v1, v5
	v_mul_hi_u32 v1, v6, v1
	v_mul_lo_u32 v5, v1, s18
	v_sub_u32_e32 v5, v6, v5
	v_add_u32_e32 v8, 1, v1
	v_subrev_u32_e32 v9, s18, v5
	v_cmp_le_u32_e32 vcc, s18, v5
	s_nop 1
	v_cndmask_b32_e32 v5, v5, v9, vcc
	v_cndmask_b32_e32 v1, v1, v8, vcc
	v_add_u32_e32 v8, 1, v1
	v_cmp_le_u32_e32 vcc, s18, v5
	v_mov_b32_e32 v9, v4
	s_nop 0
	v_cndmask_b32_e32 v8, v1, v8, vcc
.LBB0_6:                                ;   in Loop: Header=BB0_2 Depth=1
	s_or_b64 exec, exec, s[2:3]
	v_mad_u64_u32 v[10:11], s[2:3], v8, s18, 0
	s_load_dwordx2 s[2:3], s[12:13], 0x0
	v_mul_lo_u32 v1, v9, s18
	v_mul_lo_u32 v5, v8, s19
	v_add3_u32 v1, v11, v5, v1
	v_sub_co_u32_e32 v5, vcc, v6, v10
	s_add_u32 s14, s14, 1
	s_nop 0
	v_subb_co_u32_e32 v1, vcc, v7, v1, vcc
	s_addc_u32 s15, s15, 0
	s_waitcnt lgkmcnt(0)
	v_mul_lo_u32 v1, s2, v1
	v_mul_lo_u32 v6, s3, v5
	v_mad_u64_u32 v[2:3], s[2:3], s2, v5, v[2:3]
	s_add_u32 s12, s12, 8
	v_add3_u32 v3, v6, v3, v1
	s_addc_u32 s13, s13, 0
	v_mov_b64_e32 v[6:7], s[6:7]
	s_add_u32 s16, s16, 8
	v_cmp_ge_u64_e32 vcc, s[14:15], v[6:7]
	s_addc_u32 s17, s17, 0
	s_cbranch_vccnz .LBB0_9
; %bb.7:                                ;   in Loop: Header=BB0_2 Depth=1
	v_mov_b64_e32 v[6:7], v[8:9]
	s_branch .LBB0_2
.LBB0_8:
	v_mov_b64_e32 v[8:9], v[6:7]
.LBB0_9:
	s_lshl_b64 s[2:3], s[6:7], 3
	s_add_u32 s2, s10, s2
	s_addc_u32 s3, s11, s3
	s_load_dwordx2 s[6:7], s[2:3], 0x0
	s_load_dwordx2 s[10:11], s[0:1], 0x20
	s_mov_b32 s2, 0x5555556
	s_waitcnt lgkmcnt(0)
	v_mul_lo_u32 v1, s6, v9
	v_mul_lo_u32 v4, s7, v8
	v_mad_u64_u32 v[2:3], s[0:1], s6, v8, v[2:3]
	v_add3_u32 v3, v4, v3, v1
	v_mul_hi_u32 v1, v0, s2
	v_mul_u32_u24_e32 v1, 48, v1
	v_cmp_gt_u64_e64 s[0:1], s[10:11], v[8:9]
	v_sub_u32_e32 v36, v0, v1
	v_lshl_add_u64 v[38:39], v[2:3], 3, s[8:9]
	s_and_saveexec_b64 s[2:3], s[0:1]
	s_cbranch_execz .LBB0_13
; %bb.10:
	v_mov_b32_e32 v37, 0
	v_lshl_add_u64 v[0:1], v[36:37], 3, v[38:39]
	s_movk_i32 s6, 0x1000
	v_add_co_u32_e32 v18, vcc, s6, v0
	global_load_dwordx2 v[2:3], v[0:1], off
	global_load_dwordx2 v[4:5], v[0:1], off offset:384
	global_load_dwordx2 v[6:7], v[0:1], off offset:768
	;; [unrolled: 1-line block ×7, first 2 shown]
	v_addc_co_u32_e32 v19, vcc, 0, v1, vcc
	global_load_dwordx2 v[20:21], v[0:1], off offset:3072
	global_load_dwordx2 v[22:23], v[0:1], off offset:3456
	;; [unrolled: 1-line block ×4, first 2 shown]
	v_or_b32_e32 v0, 0x240, v36
	v_mov_b32_e32 v1, v37
	v_lshl_add_u64 v[0:1], v[0:1], 3, v[38:39]
	global_load_dwordx2 v[28:29], v[18:19], off offset:896
	global_load_dwordx2 v[30:31], v[18:19], off offset:1280
	global_load_dwordx2 v[32:33], v[0:1], off
	global_load_dwordx2 v[34:35], v[18:19], off offset:1664
	v_lshl_add_u32 v0, v36, 3, 0
	v_cmp_eq_u32_e32 vcc, 47, v36
	v_add_u32_e32 v1, 0x800, v0
	v_add_u32_e32 v18, 0xc00, v0
	;; [unrolled: 1-line block ×3, first 2 shown]
	s_waitcnt vmcnt(14)
	ds_write2_b64 v0, v[2:3], v[4:5] offset1:48
	s_waitcnt vmcnt(12)
	ds_write2_b64 v0, v[6:7], v[8:9] offset0:96 offset1:144
	s_waitcnt vmcnt(10)
	ds_write2_b64 v0, v[10:11], v[12:13] offset0:192 offset1:240
	;; [unrolled: 2-line block ×7, first 2 shown]
	s_and_saveexec_b64 s[6:7], vcc
	s_cbranch_execz .LBB0_12
; %bb.11:
	v_add_co_u32_e32 v0, vcc, 0x1000, v38
	v_mov_b32_e32 v36, 47
	s_nop 0
	v_addc_co_u32_e32 v1, vcc, 0, v39, vcc
	global_load_dwordx2 v[0:1], v[0:1], off offset:2048
	s_waitcnt vmcnt(0)
	ds_write_b64 v37, v[0:1] offset:6144
.LBB0_12:
	s_or_b64 exec, exec, s[6:7]
.LBB0_13:
	s_or_b64 exec, exec, s[2:3]
	v_lshlrev_b32_e32 v0, 3, v36
	v_add_u32_e32 v46, 0, v0
	s_waitcnt lgkmcnt(0)
	; wave barrier
	s_waitcnt lgkmcnt(0)
	v_sub_u32_e32 v4, 0, v0
	ds_read_b32 v1, v46
	ds_read_b32 v2, v4 offset:6144
	s_add_u32 s2, s4, 0x1780
	s_addc_u32 s3, s5, 0
	v_cmp_ne_u32_e32 vcc, 0, v36
	s_waitcnt lgkmcnt(0)
	v_add_f32_e32 v0, v2, v1
	v_sub_f32_e32 v1, v1, v2
                                        ; implicit-def: $vgpr2_vgpr3
	s_and_saveexec_b64 s[6:7], vcc
	s_xor_b64 s[6:7], exec, s[6:7]
	s_cbranch_execz .LBB0_15
; %bb.14:
	v_mov_b32_e32 v37, 0
	v_lshl_add_u64 v[2:3], v[36:37], 3, s[2:3]
	global_load_dwordx2 v[6:7], v[2:3], off
	ds_read_b32 v5, v4 offset:6148
	ds_read_b32 v11, v46 offset:4
	v_mov_b32_e32 v8, v1
	v_mov_b32_e32 v10, v0
	;; [unrolled: 1-line block ×3, first 2 shown]
	v_mov_b64_e32 v[2:3], v[36:37]
	s_waitcnt lgkmcnt(0)
	v_add_f32_e32 v9, v5, v11
	v_sub_f32_e32 v11, v11, v5
	v_mov_b32_e32 v12, v9
	s_waitcnt vmcnt(0)
	v_pk_mul_f32 v[14:15], v[8:9], v[6:7] op_sel:[0,1]
	v_pk_fma_f32 v[8:9], v[8:9], v[6:7], v[10:11] op_sel:[0,1,0]
	v_mov_b32_e32 v1, v15
	v_mov_b32_e32 v15, v11
	v_pk_fma_f32 v[16:17], v[6:7], v[12:13], v[8:9] neg_lo:[1,0,0] neg_hi:[1,0,0]
	v_pk_fma_f32 v[8:9], v[6:7], v[12:13], v[8:9] op_sel_hi:[0,1,1]
	v_pk_add_f32 v[0:1], v[0:1], v[14:15] neg_lo:[0,1] neg_hi:[0,1]
	v_mov_b32_e32 v17, v9
	v_pk_fma_f32 v[0:1], v[6:7], v[12:13], v[0:1] op_sel_hi:[0,1,1]
	ds_write_b64 v4, v[0:1] offset:6144
	v_mov_b64_e32 v[0:1], v[16:17]
.LBB0_15:
	s_andn2_saveexec_b64 s[6:7], s[6:7]
	s_cbranch_execz .LBB0_17
; %bb.16:
	v_mov_b32_e32 v5, 0
	ds_read_b64 v[2:3], v5 offset:3072
	s_mov_b32 s8, 2.0
	s_mov_b32 s9, -2.0
	s_waitcnt lgkmcnt(0)
	v_pk_mul_f32 v[2:3], v[2:3], s[8:9]
	ds_write_b64 v5, v[2:3] offset:3072
	v_mov_b64_e32 v[2:3], 0
.LBB0_17:
	s_or_b64 exec, exec, s[6:7]
	v_lshl_add_u64 v[2:3], v[2:3], 3, s[2:3]
	global_load_dwordx2 v[6:7], v[2:3], off offset:384
	global_load_dwordx2 v[8:9], v[2:3], off offset:768
	;; [unrolled: 1-line block ×4, first 2 shown]
	ds_write_b64 v46, v[0:1]
	ds_read_b64 v[0:1], v4 offset:5760
	ds_read_b64 v[14:15], v46 offset:384
	global_load_dwordx2 v[16:17], v[2:3], off offset:1920
	v_add_u32_e32 v5, 0xc00, v46
	v_add_u32_e32 v37, 0x1000, v46
	;; [unrolled: 1-line block ×3, first 2 shown]
	s_waitcnt lgkmcnt(0)
	v_pk_add_f32 v[18:19], v[14:15], v[0:1]
	v_pk_add_f32 v[0:1], v[14:15], v[0:1] neg_lo:[0,1] neg_hi:[0,1]
	v_mov_b32_e32 v14, v19
	v_mov_b32_e32 v15, v0
	;; [unrolled: 1-line block ×3, first 2 shown]
	s_mov_b32 s2, 0x3f3504f3
	s_mov_b32 s6, 0x3f6c835e
	;; [unrolled: 1-line block ×3, first 2 shown]
	v_cmp_gt_u32_e32 vcc, 16, v36
	s_waitcnt vmcnt(4)
	v_pk_mul_f32 v[20:21], v[14:15], v[6:7] op_sel:[0,1]
	s_nop 0
	v_pk_add_f32 v[22:23], v[18:19], v[20:21] op_sel:[0,1] op_sel_hi:[1,0]
	v_mov_b32_e32 v19, v20
	v_mov_b32_e32 v0, v21
	v_pk_fma_f32 v[20:21], v[6:7], v[14:15], v[22:23] neg_lo:[1,0,0] neg_hi:[1,0,0]
	v_pk_fma_f32 v[22:23], v[6:7], v[14:15], v[22:23] op_sel_hi:[0,1,1]
	v_pk_add_f32 v[0:1], v[18:19], v[0:1] neg_lo:[0,1] neg_hi:[0,1]
	v_mov_b32_e32 v21, v23
	v_pk_fma_f32 v[0:1], v[6:7], v[14:15], v[0:1] op_sel_hi:[0,1,1]
	ds_write_b64 v46, v[20:21] offset:384
	ds_write_b64 v4, v[0:1] offset:5760
	ds_read_b64 v[0:1], v4 offset:5376
	ds_read_b64 v[6:7], v46 offset:768
	global_load_dwordx2 v[14:15], v[2:3], off offset:2304
	s_waitcnt lgkmcnt(0)
	v_pk_add_f32 v[18:19], v[6:7], v[0:1]
	v_pk_add_f32 v[0:1], v[6:7], v[0:1] neg_lo:[0,1] neg_hi:[0,1]
	v_mov_b32_e32 v6, v19
	v_mov_b32_e32 v7, v0
	;; [unrolled: 1-line block ×3, first 2 shown]
	s_waitcnt vmcnt(4)
	v_pk_mul_f32 v[20:21], v[6:7], v[8:9] op_sel:[0,1]
	s_nop 0
	v_pk_add_f32 v[22:23], v[18:19], v[20:21] op_sel:[0,1] op_sel_hi:[1,0]
	v_mov_b32_e32 v19, v20
	v_mov_b32_e32 v0, v21
	v_pk_fma_f32 v[20:21], v[8:9], v[6:7], v[22:23] neg_lo:[1,0,0] neg_hi:[1,0,0]
	v_pk_fma_f32 v[22:23], v[8:9], v[6:7], v[22:23] op_sel_hi:[0,1,1]
	v_pk_add_f32 v[0:1], v[18:19], v[0:1] neg_lo:[0,1] neg_hi:[0,1]
	v_mov_b32_e32 v21, v23
	v_pk_fma_f32 v[0:1], v[8:9], v[6:7], v[0:1] op_sel_hi:[0,1,1]
	ds_write_b64 v46, v[20:21] offset:768
	ds_write_b64 v4, v[0:1] offset:5376
	ds_read_b64 v[0:1], v4 offset:4992
	ds_read_b64 v[6:7], v46 offset:1152
	global_load_dwordx2 v[2:3], v[2:3], off offset:2688
	s_waitcnt lgkmcnt(0)
	v_pk_add_f32 v[8:9], v[6:7], v[0:1]
	v_pk_add_f32 v[0:1], v[6:7], v[0:1] neg_lo:[0,1] neg_hi:[0,1]
	v_mov_b32_e32 v6, v9
	v_mov_b32_e32 v7, v0
	v_mov_b32_e32 v9, v1
	s_waitcnt vmcnt(4)
	v_pk_mul_f32 v[18:19], v[6:7], v[10:11] op_sel:[0,1]
	s_nop 0
	v_pk_add_f32 v[20:21], v[8:9], v[18:19] op_sel:[0,1] op_sel_hi:[1,0]
	v_mov_b32_e32 v9, v18
	v_mov_b32_e32 v0, v19
	v_pk_fma_f32 v[18:19], v[10:11], v[6:7], v[20:21] neg_lo:[1,0,0] neg_hi:[1,0,0]
	v_pk_fma_f32 v[20:21], v[10:11], v[6:7], v[20:21] op_sel_hi:[0,1,1]
	v_pk_add_f32 v[0:1], v[8:9], v[0:1] neg_lo:[0,1] neg_hi:[0,1]
	v_mov_b32_e32 v19, v21
	v_pk_fma_f32 v[0:1], v[10:11], v[6:7], v[0:1] op_sel_hi:[0,1,1]
	ds_write_b64 v46, v[18:19] offset:1152
	ds_write_b64 v4, v[0:1] offset:4992
	ds_read_b64 v[0:1], v4 offset:4608
	ds_read_b64 v[6:7], v46 offset:1536
	s_waitcnt lgkmcnt(0)
	v_pk_add_f32 v[8:9], v[6:7], v[0:1]
	v_pk_add_f32 v[0:1], v[6:7], v[0:1] neg_lo:[0,1] neg_hi:[0,1]
	v_mov_b32_e32 v6, v9
	v_mov_b32_e32 v7, v0
	v_mov_b32_e32 v9, v1
	s_waitcnt vmcnt(3)
	v_pk_mul_f32 v[10:11], v[6:7], v[12:13] op_sel:[0,1]
	s_nop 0
	v_pk_add_f32 v[18:19], v[8:9], v[10:11] op_sel:[0,1] op_sel_hi:[1,0]
	v_mov_b32_e32 v9, v10
	v_mov_b32_e32 v0, v11
	v_pk_fma_f32 v[10:11], v[12:13], v[6:7], v[18:19] neg_lo:[1,0,0] neg_hi:[1,0,0]
	v_pk_fma_f32 v[18:19], v[12:13], v[6:7], v[18:19] op_sel_hi:[0,1,1]
	v_pk_add_f32 v[0:1], v[8:9], v[0:1] neg_lo:[0,1] neg_hi:[0,1]
	v_mov_b32_e32 v11, v19
	v_pk_fma_f32 v[0:1], v[12:13], v[6:7], v[0:1] op_sel_hi:[0,1,1]
	ds_write_b64 v46, v[10:11] offset:1536
	ds_write_b64 v4, v[0:1] offset:4608
	ds_read_b64 v[0:1], v4 offset:4224
	ds_read_b64 v[6:7], v46 offset:1920
	;; [unrolled: 21-line block ×4, first 2 shown]
	s_waitcnt lgkmcnt(0)
	v_pk_add_f32 v[8:9], v[6:7], v[0:1]
	v_pk_add_f32 v[0:1], v[6:7], v[0:1] neg_lo:[0,1] neg_hi:[0,1]
	v_mov_b32_e32 v6, v9
	v_mov_b32_e32 v7, v0
	;; [unrolled: 1-line block ×3, first 2 shown]
	s_waitcnt vmcnt(0)
	v_pk_mul_f32 v[10:11], v[6:7], v[2:3] op_sel:[0,1]
	s_nop 0
	v_pk_add_f32 v[12:13], v[8:9], v[10:11] op_sel:[0,1] op_sel_hi:[1,0]
	v_mov_b32_e32 v9, v10
	v_mov_b32_e32 v0, v11
	v_pk_fma_f32 v[10:11], v[2:3], v[6:7], v[12:13] neg_lo:[1,0,0] neg_hi:[1,0,0]
	v_pk_fma_f32 v[12:13], v[2:3], v[6:7], v[12:13] op_sel_hi:[0,1,1]
	v_pk_add_f32 v[0:1], v[8:9], v[0:1] neg_lo:[0,1] neg_hi:[0,1]
	v_mov_b32_e32 v11, v13
	v_pk_fma_f32 v[0:1], v[2:3], v[6:7], v[0:1] op_sel_hi:[0,1,1]
	ds_write_b64 v46, v[10:11] offset:2688
	ds_write_b64 v4, v[0:1] offset:3456
	s_waitcnt lgkmcnt(0)
	; wave barrier
	s_waitcnt lgkmcnt(0)
	s_waitcnt lgkmcnt(0)
	; wave barrier
	s_waitcnt lgkmcnt(0)
	ds_read2_b64 v[0:3], v5 offset0:96 offset1:144
	ds_read2_b64 v[4:7], v37 offset0:160 offset1:208
	ds_read2_b64 v[8:11], v46 offset1:48
	ds_read2_b64 v[12:15], v46 offset0:192 offset1:240
	ds_read2_b64 v[16:19], v47 offset0:128 offset1:176
	;; [unrolled: 1-line block ×5, first 2 shown]
	s_waitcnt lgkmcnt(0)
	v_pk_add_f32 v[16:17], v[8:9], v[16:17] neg_lo:[0,1] neg_hi:[0,1]
	v_pk_add_f32 v[20:21], v[12:13], v[20:21] neg_lo:[0,1] neg_hi:[0,1]
	;; [unrolled: 1-line block ×8, first 2 shown]
	v_pk_add_f32 v[34:35], v[16:17], v[20:21] op_sel:[0,1] op_sel_hi:[1,0]
	v_pk_add_f32 v[0:1], v[16:17], v[20:21] op_sel:[0,1] op_sel_hi:[1,0] neg_lo:[0,1] neg_hi:[0,1]
	v_pk_add_f32 v[44:45], v[32:33], v[4:5] op_sel:[0,1] op_sel_hi:[1,0]
	v_pk_add_f32 v[40:41], v[32:33], v[4:5] op_sel:[0,1] op_sel_hi:[1,0] neg_lo:[0,1] neg_hi:[0,1]
	;; [unrolled: 2-line block ×3, first 2 shown]
	v_pk_fma_f32 v[8:9], v[8:9], 2.0, v[16:17] op_sel_hi:[1,0,1] neg_lo:[0,0,1] neg_hi:[0,0,1]
	v_pk_fma_f32 v[12:13], v[12:13], 2.0, v[20:21] op_sel_hi:[1,0,1] neg_lo:[0,0,1] neg_hi:[0,0,1]
	;; [unrolled: 1-line block ×8, first 2 shown]
	v_mov_b32_e32 v35, v1
	v_mov_b32_e32 v45, v41
	v_pk_add_f32 v[12:13], v[8:9], v[12:13] neg_lo:[0,1] neg_hi:[0,1]
	v_pk_add_f32 v[4:5], v[20:21], v[4:5] neg_lo:[0,1] neg_hi:[0,1]
	;; [unrolled: 1-line block ×4, first 2 shown]
	v_pk_add_f32 v[26:27], v[2:3], v[6:7] op_sel:[0,1] op_sel_hi:[1,0]
	v_pk_add_f32 v[6:7], v[2:3], v[6:7] op_sel:[0,1] op_sel_hi:[1,0] neg_lo:[0,1] neg_hi:[0,1]
	v_mov_b32_e32 v49, v43
	v_pk_mul_f32 v[40:41], v[44:45], s[2:3] op_sel_hi:[1,0]
	v_pk_fma_f32 v[50:51], v[44:45], s[2:3], v[34:35] op_sel_hi:[1,0,1]
	s_movk_i32 s3, 0x78
	v_pk_fma_f32 v[8:9], v[8:9], 2.0, v[12:13] op_sel_hi:[1,0,1] neg_lo:[0,0,1] neg_hi:[0,0,1]
	v_pk_fma_f32 v[20:21], v[20:21], 2.0, v[4:5] op_sel_hi:[1,0,1] neg_lo:[0,0,1] neg_hi:[0,0,1]
	;; [unrolled: 1-line block ×4, first 2 shown]
	v_mov_b32_e32 v27, v7
	v_pk_add_f32 v[6:7], v[8:9], v[20:21] neg_lo:[0,1] neg_hi:[0,1]
	v_pk_add_f32 v[20:21], v[10:11], v[22:23] neg_lo:[0,1] neg_hi:[0,1]
	v_pk_mul_f32 v[22:23], v[26:27], s[2:3] op_sel_hi:[1,0]
	v_pk_fma_f32 v[28:29], v[26:27], s[2:3], v[48:49] op_sel_hi:[1,0,1]
	v_pk_add_f32 v[52:53], v[50:51], v[40:41] op_sel:[0,1] op_sel_hi:[1,0]
	v_pk_add_f32 v[50:51], v[50:51], v[40:41] op_sel:[0,1] op_sel_hi:[1,0] neg_lo:[0,1] neg_hi:[0,1]
	v_pk_add_f32 v[30:31], v[28:29], v[22:23] op_sel:[0,1] op_sel_hi:[1,0]
	v_fma_f32 v40, v34, 2.0, -v52
	v_fma_f32 v54, v1, 2.0, -v51
	v_pk_add_f32 v[22:23], v[28:29], v[22:23] op_sel:[0,1] op_sel_hi:[1,0] neg_lo:[0,1] neg_hi:[0,1]
	v_fma_f32 v1, v48, 2.0, -v30
	v_mov_b32_e32 v53, v51
	v_mov_b32_e32 v31, v23
	v_fma_f32 v22, v43, 2.0, -v23
	v_fmamk_f32 v50, v1, 0xbec3ef15, v40
	v_fmamk_f32 v23, v22, 0xbec3ef15, v54
	v_fmac_f32_e32 v50, 0x3f6c835e, v22
	v_pk_fma_f32 v[42:43], v[30:31], s[6:7], v[52:53] op_sel_hi:[1,0,1]
	v_pk_mul_f32 v[30:31], v[30:31], s[8:9] op_sel_hi:[1,0]
	v_fmamk_f32 v22, v1, 0xbf6c835e, v23
	v_fma_f32 v1, v40, 2.0, -v50
	v_pk_add_f32 v[40:41], v[42:43], v[30:31] op_sel:[0,1] op_sel_hi:[1,0]
	v_pk_add_f32 v[42:43], v[42:43], v[30:31] op_sel:[0,1] op_sel_hi:[1,0] neg_lo:[0,1] neg_hi:[0,1]
	v_pk_fma_f32 v[16:17], v[16:17], 2.0, v[34:35] op_sel_hi:[1,0,1] neg_lo:[0,0,1] neg_hi:[0,0,1]
	v_pk_fma_f32 v[30:31], v[32:33], 2.0, v[44:45] op_sel_hi:[1,0,1] neg_lo:[0,0,1] neg_hi:[0,0,1]
	;; [unrolled: 1-line block ×4, first 2 shown]
	v_pk_mul_f32 v[32:33], v[30:31], s[2:3] op_sel_hi:[1,0]
	v_pk_fma_f32 v[30:31], v[30:31], s[2:3], v[16:17] op_sel_hi:[1,0,1] neg_lo:[1,0,0] neg_hi:[1,0,0]
	v_pk_mul_f32 v[26:27], v[2:3], s[2:3] op_sel_hi:[1,0]
	v_pk_fma_f32 v[2:3], v[2:3], s[2:3], v[18:19] op_sel_hi:[1,0,1] neg_lo:[1,0,0] neg_hi:[1,0,0]
	v_pk_add_f32 v[34:35], v[30:31], v[32:33] op_sel:[0,1] op_sel_hi:[1,0]
	v_pk_add_f32 v[30:31], v[30:31], v[32:33] op_sel:[0,1] op_sel_hi:[1,0] neg_lo:[0,1] neg_hi:[0,1]
	v_pk_add_f32 v[32:33], v[2:3], v[26:27] op_sel:[0,1] op_sel_hi:[1,0]
	v_pk_add_f32 v[2:3], v[2:3], v[26:27] op_sel:[0,1] op_sel_hi:[1,0] neg_lo:[0,1] neg_hi:[0,1]
	v_mov_b32_e32 v35, v31
	v_mov_b32_e32 v33, v3
	v_pk_fma_f32 v[16:17], v[16:17], 2.0, v[34:35] op_sel_hi:[1,0,1] neg_lo:[0,0,1] neg_hi:[0,0,1]
	v_pk_fma_f32 v[18:19], v[18:19], 2.0, v[32:33] op_sel_hi:[1,0,1] neg_lo:[0,0,1] neg_hi:[0,0,1]
	;; [unrolled: 1-line block ×3, first 2 shown]
	v_pk_fma_f32 v[26:27], v[18:19], s[6:7], v[16:17] op_sel_hi:[1,0,1] neg_lo:[1,0,0] neg_hi:[1,0,0]
	v_pk_mul_f32 v[18:19], v[18:19], s[8:9] op_sel_hi:[1,0]
	v_pk_fma_f32 v[10:11], v[10:11], 2.0, v[20:21] op_sel_hi:[1,0,1] neg_lo:[0,0,1] neg_hi:[0,0,1]
	v_pk_add_f32 v[44:45], v[26:27], v[18:19] op_sel:[0,1] op_sel_hi:[1,0]
	v_pk_add_f32 v[18:19], v[26:27], v[18:19] op_sel:[0,1] op_sel_hi:[1,0] neg_lo:[0,1] neg_hi:[0,1]
	v_pk_add_f32 v[10:11], v[8:9], v[10:11] neg_lo:[0,1] neg_hi:[0,1]
	v_mov_b32_e32 v45, v19
	v_mad_u32_u24 v0, v36, s3, v46
	v_pk_fma_f32 v[8:9], v[8:9], 2.0, v[10:11] op_sel_hi:[1,0,1] neg_lo:[0,0,1] neg_hi:[0,0,1]
	v_pk_fma_f32 v[16:17], v[16:17], 2.0, v[44:45] op_sel_hi:[1,0,1] neg_lo:[0,0,1] neg_hi:[0,0,1]
	; wave barrier
	ds_write2_b64 v0, v[8:9], v[16:17] offset1:1
	v_pk_add_f32 v[8:9], v[12:13], v[4:5] op_sel:[0,1] op_sel_hi:[1,0]
	v_pk_add_f32 v[4:5], v[12:13], v[4:5] op_sel:[0,1] op_sel_hi:[1,0] neg_lo:[0,1] neg_hi:[0,1]
	v_pk_add_f32 v[16:17], v[14:15], v[24:25] op_sel:[0,1] op_sel_hi:[1,0]
	v_pk_add_f32 v[24:25], v[14:15], v[24:25] op_sel:[0,1] op_sel_hi:[1,0] neg_lo:[0,1] neg_hi:[0,1]
	v_mov_b32_e32 v9, v5
	v_mov_b32_e32 v17, v25
	v_pk_fma_f32 v[12:13], v[12:13], 2.0, v[8:9] op_sel_hi:[1,0,1] neg_lo:[0,0,1] neg_hi:[0,0,1]
	v_pk_fma_f32 v[14:15], v[14:15], 2.0, v[16:17] op_sel_hi:[1,0,1] neg_lo:[0,0,1] neg_hi:[0,0,1]
	v_mov_b32_e32 v55, v6
	v_mov_b32_e32 v6, v7
	v_pk_mul_f32 v[26:27], v[14:15], s[2:3] op_sel_hi:[1,0]
	v_pk_fma_f32 v[14:15], v[14:15], s[2:3], v[12:13] op_sel_hi:[1,0,1] neg_lo:[1,0,0] neg_hi:[1,0,0]
	v_pk_add_f32 v[28:29], v[54:55], v[20:21]
	v_pk_add_f32 v[20:21], v[6:7], v[20:21] neg_lo:[0,1] neg_hi:[0,1]
	v_pk_add_f32 v[48:49], v[14:15], v[26:27] op_sel:[0,1] op_sel_hi:[1,0]
	v_pk_add_f32 v[14:15], v[14:15], v[26:27] op_sel:[0,1] op_sel_hi:[1,0] neg_lo:[0,1] neg_hi:[0,1]
	v_fmamk_f32 v21, v32, 0x3ec3ef15, v34
	v_mov_b32_e32 v49, v15
	v_fmac_f32_e32 v21, 0x3f6c835e, v3
	v_pk_fma_f32 v[12:13], v[12:13], 2.0, v[48:49] op_sel_hi:[1,0,1] neg_lo:[0,0,1] neg_hi:[0,0,1]
	v_mov_b32_e32 v23, v29
	v_mov_b32_e32 v7, v34
	ds_write_b64 v0, v[12:13] offset:16
	ds_write_b32 v0, v1 offset:24
	v_pk_fma_f32 v[12:13], v[54:55], 2.0, v[22:23] op_sel_hi:[1,0,1] neg_lo:[0,0,1] neg_hi:[0,0,1]
	v_lshl_add_u32 v1, v36, 7, 0
	v_pk_fma_f32 v[6:7], v[6:7], 2.0, v[20:21] op_sel_hi:[1,0,1] neg_lo:[0,0,1] neg_hi:[0,0,1]
	ds_write2_b32 v0, v12, v13 offset0:7 offset1:8
	ds_write2_b32 v1, v6, v7 offset0:9 offset1:10
	v_mov_b32_e32 v2, v3
	v_mov_b32_e32 v3, v16
	s_mov_b32 s9, s2
	v_mov_b32_e32 v6, v31
	v_mov_b32_e32 v7, v8
	;; [unrolled: 1-line block ×3, first 2 shown]
	s_mov_b32 s7, s2
	v_pk_fma_f32 v[12:13], v[2:3], s[8:9], v[6:7]
	v_pk_fma_f32 v[8:9], v[32:33], s[6:7], v[8:9]
	v_pk_fma_f32 v[14:15], v[32:33], s[6:7], v[12:13] neg_lo:[1,0,0] neg_hi:[1,0,0]
	v_pk_fma_f32 v[12:13], v[32:33], s[6:7], v[12:13]
	v_pk_fma_f32 v[2:3], v[2:3], s[8:9], v[8:9] neg_lo:[1,0,0] neg_hi:[1,0,0]
	v_mov_b32_e32 v15, v13
	v_pk_fma_f32 v[6:7], v[6:7], 2.0, v[14:15] op_sel_hi:[1,0,1] neg_lo:[0,0,1] neg_hi:[0,0,1]
	ds_write2_b32 v1, v6, v7 offset0:11 offset1:12
	v_mov_b32_e32 v4, v5
	v_mov_b32_e32 v5, v52
	v_mov_b32_e32 v6, v3
	v_mov_b32_e32 v7, v40
	v_fma_f32 v28, v51, 2.0, -v43
	v_pk_fma_f32 v[4:5], v[4:5], 2.0, v[6:7] op_sel_hi:[1,0,1] neg_lo:[0,0,1] neg_hi:[0,0,1]
	v_mov_b32_e32 v41, v43
	ds_write2_b32 v1, v4, v5 offset0:13 offset1:14
	ds_write_b32 v1, v28 offset:60
	ds_write2_b64 v0, v[10:11], v[44:45] offset0:8 offset1:9
	ds_write_b64 v0, v[48:49] offset:80
	ds_write_b32 v0, v50 offset:88
	ds_write2_b32 v0, v22, v29 offset0:23 offset1:24
	ds_write2_b32 v1, v20, v21 offset0:25 offset1:26
	;; [unrolled: 1-line block ×3, first 2 shown]
	ds_write_b32 v1, v3 offset:116
	ds_write_b64 v0, v[40:41] offset:120
	s_waitcnt lgkmcnt(0)
	; wave barrier
	s_waitcnt lgkmcnt(0)
	ds_read2_b64 v[24:27], v46 offset1:48
	ds_read2_b64 v[32:35], v37 offset1:48
	ds_read2_b64 v[28:31], v47 offset0:48 offset1:96
	ds_read2_b64 v[12:15], v46 offset0:96 offset1:144
	;; [unrolled: 1-line block ×4, first 2 shown]
	ds_read2st64_b64 v[8:11], v46 offset0:3 offset1:4
	ds_read_b64 v[44:45], v46 offset:5632
                                        ; implicit-def: $vgpr2
	s_and_saveexec_b64 s[2:3], vcc
	s_cbranch_execz .LBB0_19
; %bb.18:
	s_movk_i32 s6, 0xff88
	v_mad_i32_i24 v0, v36, s6, v0
	ds_read_b64 v[40:41], v46 offset:1920
	v_add_u32_e32 v0, 0x180, v0
	ds_read2st64_b64 v[0:3], v0 offset0:7 offset1:11
	s_waitcnt lgkmcnt(1)
	v_mov_b32_e32 v43, v41
.LBB0_19:
	s_or_b64 exec, exec, s[2:3]
	v_and_b32_e32 v37, 15, v36
	v_lshlrev_b32_e32 v41, 4, v37
	global_load_dwordx4 v[4:7], v41, s[4:5]
	global_load_dwordx2 v[48:49], v41, s[4:5] offset:8
	s_mov_b32 s2, 0x3f5db3d7
	s_waitcnt lgkmcnt(0)
	; wave barrier
	s_waitcnt vmcnt(1) lgkmcnt(0)
	v_pk_mul_f32 v[54:55], v[4:5], v[28:29] op_sel:[0,1]
	s_waitcnt vmcnt(0)
	v_pk_mul_f32 v[52:53], v[48:49], v[32:33] op_sel:[0,1]
	v_pk_mul_f32 v[56:57], v[48:49], v[34:35] op_sel:[0,1]
	;; [unrolled: 1-line block ×4, first 2 shown]
	v_pk_fma_f32 v[60:61], v[48:49], v[32:33], v[52:53] op_sel:[0,0,1] op_sel_hi:[1,1,0]
	v_pk_fma_f32 v[32:33], v[48:49], v[32:33], v[52:53] op_sel:[0,0,1] op_sel_hi:[1,0,0] neg_lo:[1,0,0] neg_hi:[1,0,0]
	v_pk_fma_f32 v[52:53], v[48:49], v[34:35], v[56:57] op_sel:[0,0,1] op_sel_hi:[1,1,0]
	v_pk_fma_f32 v[34:35], v[48:49], v[34:35], v[56:57] op_sel:[0,0,1] op_sel_hi:[1,0,0] neg_lo:[1,0,0] neg_hi:[1,0,0]
	;; [unrolled: 2-line block ×4, first 2 shown]
	v_pk_mul_f32 v[58:59], v[48:49], v[44:45] op_sel:[0,1]
	v_or_b32_e32 v28, 0xc0, v36
	v_pk_fma_f32 v[62:63], v[48:49], v[44:45], v[58:59] op_sel:[0,0,1] op_sel_hi:[1,1,0]
	v_pk_fma_f32 v[44:45], v[48:49], v[44:45], v[58:59] op_sel:[0,0,1] op_sel_hi:[1,0,0] neg_lo:[1,0,0] neg_hi:[1,0,0]
	v_pk_fma_f32 v[58:59], v[4:5], v[22:23], v[50:51] op_sel:[0,0,1] op_sel_hi:[1,1,0]
	v_pk_fma_f32 v[22:23], v[4:5], v[22:23], v[50:51] op_sel:[0,0,1] op_sel_hi:[1,0,0] neg_lo:[1,0,0] neg_hi:[1,0,0]
	v_mov_b32_e32 v63, v45
	v_mov_b32_e32 v59, v23
	v_pk_mul_f32 v[22:23], v[4:5], v[10:11] op_sel:[0,1]
	v_lshrrev_b32_e32 v28, 4, v28
	v_pk_fma_f32 v[44:45], v[4:5], v[10:11], v[22:23] op_sel:[0,0,1] op_sel_hi:[1,1,0]
	v_pk_fma_f32 v[10:11], v[4:5], v[10:11], v[22:23] op_sel:[0,0,1] op_sel_hi:[1,0,0] neg_lo:[1,0,0] neg_hi:[1,0,0]
	v_add_u32_e32 v22, 0x90, v36
	v_mov_b32_e32 v45, v11
	v_add_u32_e32 v10, 48, v36
	v_add_u32_e32 v11, 0x60, v36
	v_lshrrev_b32_e32 v23, 4, v36
	v_lshrrev_b32_e32 v22, 4, v22
	v_mul_u32_u24_e32 v23, 48, v23
	v_lshrrev_b32_e32 v10, 4, v10
	v_lshrrev_b32_e32 v11, 4, v11
	v_mul_u32_u24_e32 v22, 48, v22
	v_mul_u32_u24_e32 v28, 48, v28
	v_mov_b32_e32 v61, v33
	v_or_b32_e32 v23, v23, v37
	v_mul_u32_u24_e32 v10, 48, v10
	v_mul_u32_u24_e32 v11, 48, v11
	v_or_b32_e32 v22, v22, v37
	v_or_b32_e32 v28, v28, v37
	v_mov_b32_e32 v57, v29
	v_mov_b32_e32 v53, v35
	v_or_b32_e32 v10, v10, v37
	v_or_b32_e32 v11, v11, v37
	v_lshl_add_u32 v37, v23, 3, 0
	v_lshl_add_u32 v47, v22, 3, 0
	;; [unrolled: 1-line block ×3, first 2 shown]
	v_pk_add_f32 v[22:23], v[44:45], v[60:61]
	v_pk_add_f32 v[28:29], v[56:57], v[52:53]
	v_lshl_add_u32 v41, v10, 3, 0
	v_lshl_add_u32 v42, v11, 3, 0
	v_mov_b32_e32 v55, v31
	v_pk_add_f32 v[10:11], v[24:25], v[44:45]
	v_pk_fma_f32 v[22:23], v[22:23], 0.5, v[24:25] op_sel_hi:[1,0,1] neg_lo:[1,0,0] neg_hi:[1,0,0]
	v_pk_fma_f32 v[24:25], v[28:29], 0.5, v[26:27] op_sel_hi:[1,0,1] neg_lo:[1,0,0] neg_hi:[1,0,0]
	v_pk_mul_f32 v[28:29], v[48:49], v[16:17] op_sel:[0,1]
	v_pk_add_f32 v[30:31], v[44:45], v[60:61] neg_lo:[0,1] neg_hi:[0,1]
	v_pk_fma_f32 v[32:33], v[48:49], v[16:17], v[28:29] op_sel:[0,0,1] op_sel_hi:[1,1,0]
	v_pk_fma_f32 v[16:17], v[48:49], v[16:17], v[28:29] op_sel:[0,0,1] op_sel_hi:[1,0,0] neg_lo:[1,0,0] neg_hi:[1,0,0]
	v_pk_add_f32 v[28:29], v[56:57], v[52:53] neg_lo:[0,1] neg_hi:[0,1]
	v_pk_mul_f32 v[30:31], v[30:31], s[2:3] op_sel_hi:[1,0]
	v_pk_mul_f32 v[28:29], v[28:29], s[2:3] op_sel_hi:[1,0]
	v_pk_add_f32 v[34:35], v[22:23], v[30:31] op_sel:[0,1] op_sel_hi:[1,0] neg_lo:[0,1] neg_hi:[0,1]
	v_pk_add_f32 v[22:23], v[22:23], v[30:31] op_sel:[0,1] op_sel_hi:[1,0]
	v_mov_b32_e32 v33, v17
	v_pk_add_f32 v[26:27], v[26:27], v[56:57]
	v_pk_add_f32 v[10:11], v[10:11], v[60:61]
	v_pk_add_f32 v[30:31], v[24:25], v[28:29] op_sel:[0,1] op_sel_hi:[1,0] neg_lo:[0,1] neg_hi:[0,1]
	v_pk_add_f32 v[24:25], v[24:25], v[28:29] op_sel:[0,1] op_sel_hi:[1,0]
	v_mov_b32_e32 v28, v34
	v_mov_b32_e32 v29, v23
	v_pk_add_f32 v[16:17], v[54:55], v[32:33]
	v_pk_add_f32 v[26:27], v[26:27], v[52:53]
	v_mov_b32_e32 v23, v35
	v_mov_b32_e32 v34, v30
	;; [unrolled: 1-line block ×4, first 2 shown]
	ds_write2_b64 v37, v[10:11], v[28:29] offset1:16
	ds_write_b64 v37, v[22:23] offset:256
	ds_write2_b64 v41, v[26:27], v[34:35] offset1:16
	ds_write_b64 v41, v[24:25] offset:256
	v_pk_add_f32 v[10:11], v[12:13], v[54:55]
	v_pk_fma_f32 v[12:13], v[16:17], 0.5, v[12:13] op_sel_hi:[1,0,1] neg_lo:[1,0,0] neg_hi:[1,0,0]
	v_pk_add_f32 v[16:17], v[54:55], v[32:33] neg_lo:[0,1] neg_hi:[0,1]
	v_pk_add_f32 v[10:11], v[10:11], v[32:33]
	v_pk_mul_f32 v[16:17], v[16:17], s[2:3] op_sel_hi:[1,0]
	v_pk_add_f32 v[30:31], v[8:9], v[58:59]
	v_pk_add_f32 v[22:23], v[12:13], v[16:17] op_sel:[0,1] op_sel_hi:[1,0] neg_lo:[0,1] neg_hi:[0,1]
	v_pk_add_f32 v[12:13], v[12:13], v[16:17] op_sel:[0,1] op_sel_hi:[1,0]
	v_mov_b32_e32 v16, v22
	v_mov_b32_e32 v17, v13
	ds_write2_b64 v42, v[10:11], v[16:17] offset1:16
	v_mov_b32_e32 v13, v23
	v_pk_mul_f32 v[10:11], v[4:5], v[20:21] op_sel:[0,1]
	ds_write_b64 v42, v[12:13] offset:256
	v_pk_fma_f32 v[12:13], v[4:5], v[20:21], v[10:11] op_sel:[0,0,1] op_sel_hi:[1,1,0]
	v_pk_fma_f32 v[4:5], v[4:5], v[20:21], v[10:11] op_sel:[0,0,1] op_sel_hi:[1,0,0] neg_lo:[1,0,0] neg_hi:[1,0,0]
	v_pk_add_f32 v[30:31], v[30:31], v[62:63]
	v_mov_b32_e32 v13, v5
	v_pk_mul_f32 v[4:5], v[48:49], v[18:19] op_sel:[0,1]
	s_nop 0
	v_pk_fma_f32 v[10:11], v[48:49], v[18:19], v[4:5] op_sel:[0,0,1] op_sel_hi:[1,1,0]
	v_pk_fma_f32 v[4:5], v[48:49], v[18:19], v[4:5] op_sel:[0,0,1] op_sel_hi:[1,0,0] neg_lo:[1,0,0] neg_hi:[1,0,0]
	s_nop 0
	v_mov_b32_e32 v11, v5
	v_pk_add_f32 v[4:5], v[14:15], v[12:13]
	v_pk_add_f32 v[16:17], v[12:13], v[10:11]
	;; [unrolled: 1-line block ×3, first 2 shown]
	v_pk_add_f32 v[10:11], v[12:13], v[10:11] neg_lo:[0,1] neg_hi:[0,1]
	v_pk_fma_f32 v[14:15], v[16:17], 0.5, v[14:15] op_sel_hi:[1,0,1] neg_lo:[1,0,0] neg_hi:[1,0,0]
	v_pk_mul_f32 v[10:11], v[10:11], s[2:3] op_sel_hi:[1,0]
	s_nop 0
	v_pk_add_f32 v[12:13], v[14:15], v[10:11] op_sel:[0,1] op_sel_hi:[1,0] neg_lo:[0,1] neg_hi:[0,1]
	v_pk_add_f32 v[10:11], v[14:15], v[10:11] op_sel:[0,1] op_sel_hi:[1,0]
	v_mov_b32_e32 v14, v12
	v_mov_b32_e32 v15, v11
	ds_write2_b64 v47, v[4:5], v[14:15] offset1:16
	v_pk_add_f32 v[4:5], v[58:59], v[62:63]
	v_mov_b32_e32 v11, v13
	v_pk_fma_f32 v[4:5], v[4:5], 0.5, v[8:9] op_sel_hi:[1,0,1] neg_lo:[1,0,0] neg_hi:[1,0,0]
	v_pk_add_f32 v[8:9], v[58:59], v[62:63] neg_lo:[0,1] neg_hi:[0,1]
	ds_write_b64 v47, v[10:11] offset:256
	v_pk_mul_f32 v[8:9], v[8:9], s[2:3] op_sel_hi:[1,0]
	s_nop 0
	v_pk_add_f32 v[10:11], v[4:5], v[8:9] op_sel:[0,1] op_sel_hi:[1,0] neg_lo:[0,1] neg_hi:[0,1]
	v_pk_add_f32 v[4:5], v[4:5], v[8:9] op_sel:[0,1] op_sel_hi:[1,0]
	v_mov_b32_e32 v8, v10
	v_mov_b32_e32 v9, v5
	;; [unrolled: 1-line block ×3, first 2 shown]
	ds_write2_b64 v50, v[30:31], v[8:9] offset1:16
	ds_write_b64 v50, v[4:5] offset:256
	s_and_saveexec_b64 s[6:7], vcc
	s_cbranch_execz .LBB0_21
; %bb.20:
	v_lshlrev_b32_e32 v4, 4, v36
	v_and_b32_e32 v4, 0xf0, v4
	global_load_dwordx2 v[4:5], v4, s[4:5]
	v_mov_b32_e32 v10, v3
	v_pk_mul_f32 v[10:11], v[10:11], v[6:7] op_sel_hi:[0,1]
	v_mov_b32_e32 v8, v1
	v_add_u32_e32 v9, 0x1000, v46
	v_pk_fma_f32 v[12:13], v[2:3], v[6:7], v[10:11] op_sel:[0,0,1] op_sel_hi:[1,1,0]
	v_pk_fma_f32 v[2:3], v[2:3], v[6:7], v[10:11] op_sel:[0,0,1] op_sel_hi:[0,1,0] neg_lo:[1,0,0] neg_hi:[1,0,0]
	v_mov_b32_e32 v13, v3
	v_mov_b32_e32 v41, v43
	s_waitcnt vmcnt(0)
	v_pk_mul_f32 v[2:3], v[8:9], v[4:5] op_sel_hi:[0,1]
	v_pk_fma_f32 v[6:7], v[0:1], v[4:5], v[2:3] op_sel:[0,0,1] op_sel_hi:[1,1,0]
	v_pk_fma_f32 v[0:1], v[0:1], v[4:5], v[2:3] op_sel:[0,0,1] op_sel_hi:[0,1,0] neg_lo:[1,0,0] neg_hi:[1,0,0]
	v_mov_b32_e32 v7, v1
	v_pk_add_f32 v[2:3], v[6:7], v[12:13]
	v_pk_add_f32 v[4:5], v[6:7], v[12:13] neg_lo:[0,1] neg_hi:[0,1]
	v_pk_fma_f32 v[2:3], -0.5, v[2:3], v[40:41] op_sel_hi:[0,1,1]
	v_pk_mul_f32 v[4:5], v[4:5], s[2:3] op_sel_hi:[1,0]
	v_pk_add_f32 v[0:1], v[40:41], v[6:7]
	v_pk_add_f32 v[6:7], v[2:3], v[4:5] op_sel:[0,1] op_sel_hi:[1,0] neg_lo:[0,1] neg_hi:[0,1]
	v_pk_add_f32 v[2:3], v[2:3], v[4:5] op_sel:[0,1] op_sel_hi:[1,0]
	v_pk_add_f32 v[0:1], v[0:1], v[12:13]
	v_mov_b32_e32 v4, v6
	v_mov_b32_e32 v5, v3
	;; [unrolled: 1-line block ×3, first 2 shown]
	ds_write2_b64 v9, v[0:1], v[4:5] offset0:208 offset1:224
	ds_write_b64 v46, v[2:3] offset:6016
.LBB0_21:
	s_or_b64 exec, exec, s[6:7]
	v_mul_u32_u24_e32 v0, 15, v36
	v_lshlrev_b32_e32 v37, 3, v0
	s_waitcnt lgkmcnt(0)
	; wave barrier
	s_waitcnt lgkmcnt(0)
	global_load_dwordx4 v[0:3], v37, s[4:5] offset:256
	global_load_dwordx4 v[4:7], v37, s[4:5] offset:272
	;; [unrolled: 1-line block ×5, first 2 shown]
	ds_read2_b64 v[20:23], v46 offset1:48
	ds_read2_b64 v[24:27], v46 offset0:96 offset1:144
	ds_read2_b64 v[28:31], v46 offset0:192 offset1:240
	v_add_u32_e32 v47, 0x800, v46
	ds_read2_b64 v[32:35], v47 offset0:32 offset1:80
	ds_read2_b64 v[40:43], v47 offset0:128 offset1:176
	v_add_u32_e32 v70, 0xc00, v46
	s_mov_b32 s2, 0x3f3504f3
	s_mov_b32 s6, 0x3ec3ef15
	s_waitcnt vmcnt(4) lgkmcnt(4)
	v_pk_mul_f32 v[44:45], v[0:1], v[22:23] op_sel:[0,1]
	s_waitcnt lgkmcnt(3)
	v_pk_mul_f32 v[48:49], v[2:3], v[24:25] op_sel:[0,1]
	v_pk_fma_f32 v[50:51], v[0:1], v[22:23], v[44:45] op_sel:[0,0,1] op_sel_hi:[1,1,0]
	v_pk_fma_f32 v[22:23], v[0:1], v[22:23], v[44:45] op_sel:[0,0,1] op_sel_hi:[1,0,0] neg_lo:[1,0,0] neg_hi:[1,0,0]
	s_waitcnt vmcnt(3)
	v_pk_mul_f32 v[0:1], v[4:5], v[26:27] op_sel:[0,1]
	v_pk_fma_f32 v[44:45], v[2:3], v[24:25], v[48:49] op_sel:[0,0,1] op_sel_hi:[1,1,0]
	v_pk_fma_f32 v[24:25], v[2:3], v[24:25], v[48:49] op_sel:[0,0,1] op_sel_hi:[1,0,0] neg_lo:[1,0,0] neg_hi:[1,0,0]
	v_pk_fma_f32 v[48:49], v[4:5], v[26:27], v[0:1] op_sel:[0,0,1] op_sel_hi:[1,1,0]
	v_pk_fma_f32 v[26:27], v[4:5], v[26:27], v[0:1] op_sel:[0,0,1] op_sel_hi:[1,0,0] neg_lo:[1,0,0] neg_hi:[1,0,0]
	s_waitcnt lgkmcnt(2)
	v_pk_mul_f32 v[0:1], v[6:7], v[28:29] op_sel:[0,1]
	s_waitcnt vmcnt(0)
	v_mov_b32_e32 v4, v19
	v_pk_fma_f32 v[52:53], v[6:7], v[28:29], v[0:1] op_sel:[0,0,1] op_sel_hi:[1,1,0]
	v_pk_fma_f32 v[28:29], v[6:7], v[28:29], v[0:1] op_sel:[0,0,1] op_sel_hi:[1,0,0] neg_lo:[1,0,0] neg_hi:[1,0,0]
	v_pk_mul_f32 v[0:1], v[30:31], v[8:9] op_sel:[0,1]
	v_mov_b32_e32 v53, v29
	v_pk_fma_f32 v[54:55], v[30:31], v[8:9], v[0:1] op_sel:[0,0,1] op_sel_hi:[1,1,0]
	v_pk_fma_f32 v[8:9], v[30:31], v[8:9], v[0:1] op_sel:[0,0,1] op_sel_hi:[1,0,0] neg_lo:[0,0,1] neg_hi:[0,0,1]
	v_mov_b32_e32 v0, v11
	s_waitcnt lgkmcnt(1)
	v_pk_mul_f32 v[0:1], v[32:33], v[0:1] op_sel_hi:[1,0]
	v_mov_b32_e32 v55, v9
	v_pk_fma_f32 v[30:31], v[32:33], v[10:11], v[0:1] op_sel:[0,0,1] op_sel_hi:[1,1,0]
	v_pk_fma_f32 v[10:11], v[32:33], v[10:11], v[0:1] op_sel:[0,0,1] op_sel_hi:[1,0,0] neg_lo:[0,0,1] neg_hi:[0,0,1]
	v_pk_mul_f32 v[0:1], v[34:35], v[12:13] op_sel:[0,1]
	v_mov_b32_e32 v31, v11
	v_pk_fma_f32 v[32:33], v[34:35], v[12:13], v[0:1] op_sel:[0,0,1] op_sel_hi:[1,1,0]
	v_pk_fma_f32 v[12:13], v[34:35], v[12:13], v[0:1] op_sel:[0,0,1] op_sel_hi:[1,0,0] neg_lo:[0,0,1] neg_hi:[0,0,1]
	v_mov_b32_e32 v0, v15
	s_waitcnt lgkmcnt(0)
	v_pk_mul_f32 v[0:1], v[40:41], v[0:1] op_sel_hi:[1,0]
	v_mov_b32_e32 v33, v13
	v_pk_fma_f32 v[34:35], v[40:41], v[14:15], v[0:1] op_sel:[0,0,1] op_sel_hi:[1,1,0]
	v_pk_fma_f32 v[14:15], v[40:41], v[14:15], v[0:1] op_sel:[0,0,1] op_sel_hi:[1,0,0] neg_lo:[0,0,1] neg_hi:[0,0,1]
	v_pk_mul_f32 v[0:1], v[42:43], v[16:17] op_sel:[0,1]
	v_mov_b32_e32 v35, v15
	v_pk_fma_f32 v[40:41], v[42:43], v[16:17], v[0:1] op_sel:[0,0,1] op_sel_hi:[1,1,0]
	v_pk_fma_f32 v[16:17], v[42:43], v[16:17], v[0:1] op_sel:[0,0,1] op_sel_hi:[1,0,0] neg_lo:[0,0,1] neg_hi:[0,0,1]
	ds_read2_b64 v[0:3], v70 offset0:96 offset1:144
	v_mov_b32_e32 v45, v25
	v_mov_b32_e32 v51, v23
	;; [unrolled: 1-line block ×4, first 2 shown]
	s_waitcnt lgkmcnt(0)
	v_pk_mul_f32 v[4:5], v[0:1], v[4:5] op_sel_hi:[1,0]
	s_nop 0
	v_pk_fma_f32 v[42:43], v[0:1], v[18:19], v[4:5] op_sel:[0,0,1] op_sel_hi:[1,1,0]
	v_pk_fma_f32 v[18:19], v[0:1], v[18:19], v[4:5] op_sel:[0,0,1] op_sel_hi:[1,0,0] neg_lo:[0,0,1] neg_hi:[0,0,1]
	global_load_dwordx4 v[4:7], v37, s[4:5] offset:336
	v_mov_b32_e32 v43, v19
	v_pk_add_f32 v[10:11], v[44:45], v[42:43] neg_lo:[0,1] neg_hi:[0,1]
	v_pk_add_f32 v[18:19], v[50:51], v[40:41] neg_lo:[0,1] neg_hi:[0,1]
	v_pk_fma_f32 v[12:13], v[44:45], 2.0, v[10:11] op_sel_hi:[1,0,1] neg_lo:[0,0,1] neg_hi:[0,0,1]
	s_waitcnt vmcnt(0)
	v_pk_mul_f32 v[0:1], v[2:3], v[4:5] op_sel:[0,1]
	s_nop 0
	v_pk_fma_f32 v[58:59], v[2:3], v[4:5], v[0:1] op_sel:[0,0,1] op_sel_hi:[1,0,0] neg_lo:[0,0,1] neg_hi:[0,0,1]
	v_pk_fma_f32 v[56:57], v[2:3], v[4:5], v[0:1] op_sel:[0,0,1] op_sel_hi:[1,1,0]
	v_add_u32_e32 v58, 0x1000, v46
	ds_read2_b64 v[0:3], v58 offset0:64 offset1:112
	v_mov_b32_e32 v4, v7
	v_mov_b32_e32 v57, v59
	v_pk_add_f32 v[26:27], v[48:49], v[56:57] neg_lo:[0,1] neg_hi:[0,1]
	s_waitcnt lgkmcnt(0)
	v_pk_mul_f32 v[4:5], v[0:1], v[4:5] op_sel_hi:[1,0]
	s_nop 0
	v_pk_fma_f32 v[60:61], v[0:1], v[6:7], v[4:5] op_sel:[0,0,1] op_sel_hi:[1,1,0]
	v_pk_fma_f32 v[62:63], v[0:1], v[6:7], v[4:5] op_sel:[0,0,1] op_sel_hi:[1,0,0] neg_lo:[0,0,1] neg_hi:[0,0,1]
	global_load_dwordx4 v[4:7], v37, s[4:5] offset:352
	v_mov_b32_e32 v61, v63
	v_pk_fma_f32 v[28:29], v[48:49], 2.0, v[26:27] op_sel_hi:[1,0,1] neg_lo:[0,0,1] neg_hi:[0,0,1]
	s_waitcnt vmcnt(0)
	v_pk_mul_f32 v[0:1], v[2:3], v[4:5] op_sel:[0,1]
	s_nop 0
	v_pk_fma_f32 v[64:65], v[2:3], v[4:5], v[0:1] op_sel:[0,0,1] op_sel_hi:[1,1,0]
	v_pk_fma_f32 v[4:5], v[2:3], v[4:5], v[0:1] op_sel:[0,0,1] op_sel_hi:[1,0,0] neg_lo:[0,0,1] neg_hi:[0,0,1]
	ds_read2_b64 v[0:3], v58 offset0:160 offset1:208
	v_mov_b32_e32 v4, v7
	v_mov_b32_e32 v65, v5
	v_pk_add_f32 v[22:23], v[54:55], v[64:65] neg_lo:[0,1] neg_hi:[0,1]
	s_waitcnt lgkmcnt(0)
	v_pk_mul_f32 v[66:67], v[0:1], v[4:5] op_sel_hi:[1,0]
	global_load_dwordx2 v[4:5], v37, s[4:5] offset:368
	v_pk_fma_f32 v[68:69], v[0:1], v[6:7], v[66:67] op_sel:[0,0,1] op_sel_hi:[1,1,0]
	v_pk_fma_f32 v[0:1], v[0:1], v[6:7], v[66:67] op_sel:[0,0,1] op_sel_hi:[1,0,0] neg_lo:[0,0,1] neg_hi:[0,0,1]
	v_pk_fma_f32 v[24:25], v[54:55], 2.0, v[22:23] op_sel_hi:[1,0,1] neg_lo:[0,0,1] neg_hi:[0,0,1]
	v_mov_b32_e32 v69, v1
	v_pk_add_f32 v[14:15], v[30:31], v[68:69] neg_lo:[0,1] neg_hi:[0,1]
	s_mov_b32 s4, 0x3f6c835e
	v_pk_fma_f32 v[16:17], v[30:31], 2.0, v[14:15] op_sel_hi:[1,0,1] neg_lo:[0,0,1] neg_hi:[0,0,1]
	s_nop 0
	v_pk_add_f32 v[16:17], v[12:13], v[16:17] neg_lo:[0,1] neg_hi:[0,1]
	; wave barrier
	s_nop 0
	v_pk_fma_f32 v[12:13], v[12:13], 2.0, v[16:17] op_sel_hi:[1,0,1] neg_lo:[0,0,1] neg_hi:[0,0,1]
	s_waitcnt vmcnt(0)
	v_pk_mul_f32 v[6:7], v[2:3], v[4:5] op_sel:[0,1]
	s_nop 0
	v_pk_fma_f32 v[8:9], v[2:3], v[4:5], v[6:7] op_sel:[0,0,1] op_sel_hi:[1,1,0]
	v_pk_fma_f32 v[0:1], v[2:3], v[4:5], v[6:7] op_sel:[0,0,1] op_sel_hi:[1,0,0] neg_lo:[0,0,1] neg_hi:[0,0,1]
	v_pk_add_f32 v[4:5], v[52:53], v[60:61] neg_lo:[0,1] neg_hi:[0,1]
	v_mov_b32_e32 v9, v1
	v_pk_add_f32 v[0:1], v[20:21], v[34:35] neg_lo:[0,1] neg_hi:[0,1]
	v_pk_add_f32 v[8:9], v[32:33], v[8:9] neg_lo:[0,1] neg_hi:[0,1]
	v_pk_fma_f32 v[6:7], v[52:53], 2.0, v[4:5] op_sel_hi:[1,0,1] neg_lo:[0,0,1] neg_hi:[0,0,1]
	v_pk_fma_f32 v[30:31], v[32:33], 2.0, v[8:9] op_sel_hi:[1,0,1] neg_lo:[0,0,1] neg_hi:[0,0,1]
	v_pk_add_f32 v[32:33], v[0:1], v[4:5] op_sel:[0,1] op_sel_hi:[1,0]
	v_pk_add_f32 v[4:5], v[0:1], v[4:5] op_sel:[0,1] op_sel_hi:[1,0] neg_lo:[0,1] neg_hi:[0,1]
	v_pk_fma_f32 v[2:3], v[20:21], 2.0, v[0:1] op_sel_hi:[1,0,1] neg_lo:[0,0,1] neg_hi:[0,0,1]
	v_mov_b32_e32 v33, v5
	v_pk_add_f32 v[4:5], v[10:11], v[14:15] op_sel:[0,1] op_sel_hi:[1,0]
	v_pk_add_f32 v[14:15], v[10:11], v[14:15] op_sel:[0,1] op_sel_hi:[1,0] neg_lo:[0,1] neg_hi:[0,1]
	v_pk_fma_f32 v[0:1], v[0:1], 2.0, v[32:33] op_sel_hi:[1,0,1] neg_lo:[0,0,1] neg_hi:[0,0,1]
	v_mov_b32_e32 v5, v15
	;; [unrolled: 4-line block ×4, first 2 shown]
	v_pk_fma_f32 v[18:19], v[18:19], 2.0, v[14:15] op_sel_hi:[1,0,1] neg_lo:[0,0,1] neg_hi:[0,0,1]
	v_pk_fma_f32 v[8:9], v[26:27], 2.0, v[22:23] op_sel_hi:[1,0,1] neg_lo:[0,0,1] neg_hi:[0,0,1]
	v_pk_mul_f32 v[26:27], v[10:11], s[2:3] op_sel_hi:[1,0]
	v_pk_fma_f32 v[10:11], v[10:11], s[2:3], v[0:1] op_sel_hi:[1,0,1] neg_lo:[1,0,0] neg_hi:[1,0,0]
	v_pk_add_f32 v[6:7], v[2:3], v[6:7] neg_lo:[0,1] neg_hi:[0,1]
	v_pk_add_f32 v[34:35], v[10:11], v[26:27] op_sel:[0,1] op_sel_hi:[1,0]
	v_pk_add_f32 v[10:11], v[10:11], v[26:27] op_sel:[0,1] op_sel_hi:[1,0] neg_lo:[0,1] neg_hi:[0,1]
	v_pk_mul_f32 v[26:27], v[8:9], s[2:3] op_sel_hi:[1,0]
	v_pk_fma_f32 v[8:9], v[8:9], s[2:3], v[18:19] op_sel_hi:[1,0,1] neg_lo:[1,0,0] neg_hi:[1,0,0]
	v_pk_add_f32 v[24:25], v[20:21], v[24:25] neg_lo:[0,1] neg_hi:[0,1]
	v_pk_add_f32 v[40:41], v[8:9], v[26:27] op_sel:[0,1] op_sel_hi:[1,0]
	v_pk_add_f32 v[8:9], v[8:9], v[26:27] op_sel:[0,1] op_sel_hi:[1,0] neg_lo:[0,1] neg_hi:[0,1]
	v_pk_add_f32 v[30:31], v[28:29], v[30:31] neg_lo:[0,1] neg_hi:[0,1]
	v_mov_b32_e32 v35, v11
	v_mov_b32_e32 v41, v9
	v_pk_fma_f32 v[2:3], v[2:3], 2.0, v[6:7] op_sel_hi:[1,0,1] neg_lo:[0,0,1] neg_hi:[0,0,1]
	v_pk_fma_f32 v[20:21], v[20:21], 2.0, v[24:25] op_sel_hi:[1,0,1] neg_lo:[0,0,1] neg_hi:[0,0,1]
	;; [unrolled: 1-line block ×5, first 2 shown]
	v_pk_add_f32 v[12:13], v[2:3], v[12:13] neg_lo:[0,1] neg_hi:[0,1]
	v_pk_add_f32 v[28:29], v[20:21], v[28:29] neg_lo:[0,1] neg_hi:[0,1]
	v_pk_fma_f32 v[26:27], v[18:19], s[4:5], v[0:1] op_sel_hi:[1,0,1] neg_lo:[1,0,0] neg_hi:[1,0,0]
	v_pk_mul_f32 v[18:19], v[18:19], s[6:7] op_sel_hi:[1,0]
	v_pk_fma_f32 v[2:3], v[2:3], 2.0, v[12:13] op_sel_hi:[1,0,1] neg_lo:[0,0,1] neg_hi:[0,0,1]
	v_pk_fma_f32 v[20:21], v[20:21], 2.0, v[28:29] op_sel_hi:[1,0,1] neg_lo:[0,0,1] neg_hi:[0,0,1]
	v_pk_add_f32 v[42:43], v[26:27], v[18:19] op_sel:[0,1] op_sel_hi:[1,0]
	v_pk_add_f32 v[18:19], v[26:27], v[18:19] op_sel:[0,1] op_sel_hi:[1,0] neg_lo:[0,1] neg_hi:[0,1]
	v_pk_add_f32 v[20:21], v[2:3], v[20:21] neg_lo:[0,1] neg_hi:[0,1]
	v_mov_b32_e32 v43, v19
	v_pk_fma_f32 v[2:3], v[2:3], 2.0, v[20:21] op_sel_hi:[1,0,1] neg_lo:[0,0,1] neg_hi:[0,0,1]
	v_pk_fma_f32 v[0:1], v[0:1], 2.0, v[42:43] op_sel_hi:[1,0,1] neg_lo:[0,0,1] neg_hi:[0,0,1]
	ds_write2_b64 v46, v[2:3], v[0:1] offset1:48
	v_pk_add_f32 v[0:1], v[6:7], v[16:17] op_sel:[0,1] op_sel_hi:[1,0]
	v_pk_add_f32 v[2:3], v[6:7], v[16:17] op_sel:[0,1] op_sel_hi:[1,0] neg_lo:[0,1] neg_hi:[0,1]
	v_pk_add_f32 v[16:17], v[24:25], v[30:31] op_sel:[0,1] op_sel_hi:[1,0] neg_lo:[0,1] neg_hi:[0,1]
	v_mov_b32_e32 v1, v3
	v_pk_fma_f32 v[2:3], v[6:7], 2.0, v[0:1] op_sel_hi:[1,0,1] neg_lo:[0,0,1] neg_hi:[0,0,1]
	v_pk_add_f32 v[6:7], v[24:25], v[30:31] op_sel:[0,1] op_sel_hi:[1,0]
	v_pk_mul_f32 v[26:27], v[22:23], s[2:3] op_sel_hi:[1,0]
	v_mov_b32_e32 v7, v17
	v_pk_fma_f32 v[16:17], v[24:25], 2.0, v[6:7] op_sel_hi:[1,0,1] neg_lo:[0,0,1] neg_hi:[0,0,1]
	v_pk_fma_f32 v[22:23], v[22:23], s[2:3], v[14:15] op_sel_hi:[1,0,1]
	v_pk_mul_f32 v[18:19], v[16:17], s[2:3] op_sel_hi:[1,0]
	v_pk_fma_f32 v[16:17], v[16:17], s[2:3], v[2:3] op_sel_hi:[1,0,1] neg_lo:[1,0,0] neg_hi:[1,0,0]
	v_pk_add_f32 v[30:31], v[22:23], v[26:27] op_sel:[0,1] op_sel_hi:[1,0]
	v_pk_add_f32 v[24:25], v[16:17], v[18:19] op_sel:[0,1] op_sel_hi:[1,0]
	v_pk_add_f32 v[16:17], v[16:17], v[18:19] op_sel:[0,1] op_sel_hi:[1,0] neg_lo:[0,1] neg_hi:[0,1]
	v_pk_add_f32 v[22:23], v[22:23], v[26:27] op_sel:[0,1] op_sel_hi:[1,0] neg_lo:[0,1] neg_hi:[0,1]
	v_mov_b32_e32 v25, v17
	v_pk_mul_f32 v[16:17], v[4:5], s[2:3] op_sel_hi:[1,0]
	v_pk_fma_f32 v[4:5], v[4:5], s[2:3], v[32:33] op_sel_hi:[1,0,1]
	v_mov_b32_e32 v31, v23
	v_pk_add_f32 v[18:19], v[4:5], v[16:17] op_sel:[0,1] op_sel_hi:[1,0]
	v_pk_add_f32 v[4:5], v[4:5], v[16:17] op_sel:[0,1] op_sel_hi:[1,0] neg_lo:[0,1] neg_hi:[0,1]
	v_pk_fma_f32 v[14:15], v[14:15], 2.0, v[30:31] op_sel_hi:[1,0,1] neg_lo:[0,0,1] neg_hi:[0,0,1]
	v_mov_b32_e32 v19, v5
	v_pk_fma_f32 v[16:17], v[32:33], 2.0, v[18:19] op_sel_hi:[1,0,1] neg_lo:[0,0,1] neg_hi:[0,0,1]
	v_pk_fma_f32 v[2:3], v[2:3], 2.0, v[24:25] op_sel_hi:[1,0,1] neg_lo:[0,0,1] neg_hi:[0,0,1]
	v_pk_fma_f32 v[26:27], v[14:15], s[6:7], v[16:17] op_sel_hi:[1,0,1] neg_lo:[1,0,0] neg_hi:[1,0,0]
	v_pk_mul_f32 v[14:15], v[14:15], s[4:5] op_sel_hi:[1,0]
	v_fmamk_f32 v8, v40, 0x3ec3ef15, v34
	v_pk_add_f32 v[32:33], v[26:27], v[14:15] op_sel:[0,1] op_sel_hi:[1,0]
	v_pk_add_f32 v[14:15], v[26:27], v[14:15] op_sel:[0,1] op_sel_hi:[1,0] neg_lo:[0,1] neg_hi:[0,1]
	v_fmamk_f32 v10, v9, 0x3ec3ef15, v11
	v_mov_b32_e32 v33, v15
	v_pk_fma_f32 v[14:15], v[16:17], 2.0, v[32:33] op_sel_hi:[1,0,1] neg_lo:[0,0,1] neg_hi:[0,0,1]
	ds_write2_b64 v46, v[2:3], v[14:15] offset0:96 offset1:144
	v_pk_add_f32 v[2:3], v[12:13], v[28:29] op_sel:[0,1] op_sel_hi:[1,0]
	v_pk_add_f32 v[14:15], v[12:13], v[28:29] op_sel:[0,1] op_sel_hi:[1,0] neg_lo:[0,1] neg_hi:[0,1]
	v_fmac_f32_e32 v8, 0x3f6c835e, v9
	v_fmamk_f32 v9, v40, 0xbf6c835e, v10
	v_mov_b32_e32 v3, v15
	v_fma_f32 v10, v34, 2.0, -v8
	v_fma_f32 v11, v11, 2.0, -v9
	v_pk_fma_f32 v[12:13], v[12:13], 2.0, v[2:3] op_sel_hi:[1,0,1] neg_lo:[0,0,1] neg_hi:[0,0,1]
	ds_write2_b64 v46, v[12:13], v[10:11] offset0:192 offset1:240
	v_pk_mul_f32 v[10:11], v[6:7], s[2:3] op_sel_hi:[1,0]
	v_pk_fma_f32 v[6:7], v[6:7], s[2:3], v[0:1] op_sel_hi:[1,0,1]
	v_fmamk_f32 v16, v30, 0x3f6c835e, v18
	v_fmamk_f32 v4, v23, 0x3f6c835e, v5
	v_pk_add_f32 v[12:13], v[6:7], v[10:11] op_sel:[0,1] op_sel_hi:[1,0]
	v_pk_add_f32 v[6:7], v[6:7], v[10:11] op_sel:[0,1] op_sel_hi:[1,0] neg_lo:[0,1] neg_hi:[0,1]
	v_fmac_f32_e32 v16, 0x3ec3ef15, v23
	v_fmamk_f32 v17, v30, 0xbec3ef15, v4
	v_mov_b32_e32 v13, v7
	v_fma_f32 v4, v18, 2.0, -v16
	v_fma_f32 v5, v5, 2.0, -v17
	v_pk_fma_f32 v[0:1], v[0:1], 2.0, v[12:13] op_sel_hi:[1,0,1] neg_lo:[0,0,1] neg_hi:[0,0,1]
	ds_write2_b64 v47, v[0:1], v[4:5] offset0:32 offset1:80
	ds_write2_b64 v47, v[20:21], v[42:43] offset0:128 offset1:176
	;; [unrolled: 1-line block ×5, first 2 shown]
	s_waitcnt lgkmcnt(0)
	; wave barrier
	s_waitcnt lgkmcnt(0)
	s_and_saveexec_b64 s[2:3], s[0:1]
	s_cbranch_execz .LBB0_23
; %bb.22:
	v_lshl_add_u32 v8, v36, 3, 0
	ds_read2_b64 v[0:3], v8 offset1:48
	v_mov_b32_e32 v37, 0
	v_add_u32_e32 v4, 48, v36
	v_lshl_add_u64 v[6:7], v[36:37], 3, v[38:39]
	v_mov_b32_e32 v5, v37
	s_waitcnt lgkmcnt(0)
	global_store_dwordx2 v[6:7], v[0:1], off
	v_lshl_add_u64 v[0:1], v[4:5], 3, v[38:39]
	ds_read2_b64 v[4:7], v8 offset0:96 offset1:144
	global_store_dwordx2 v[0:1], v[2:3], off
	v_add_u32_e32 v0, 0x60, v36
	v_mov_b32_e32 v1, v37
	v_lshl_add_u64 v[0:1], v[0:1], 3, v[38:39]
	s_waitcnt lgkmcnt(0)
	global_store_dwordx2 v[0:1], v[4:5], off
	v_add_u32_e32 v0, 0x90, v36
	v_mov_b32_e32 v1, v37
	v_lshl_add_u64 v[4:5], v[0:1], 3, v[38:39]
	ds_read2_b64 v[0:3], v8 offset0:192 offset1:240
	global_store_dwordx2 v[4:5], v[6:7], off
	v_add_u32_e32 v4, 0xc0, v36
	v_mov_b32_e32 v5, v37
	v_lshl_add_u64 v[4:5], v[4:5], 3, v[38:39]
	v_add_u32_e32 v9, 0x800, v8
	s_waitcnt lgkmcnt(0)
	global_store_dwordx2 v[4:5], v[0:1], off
	ds_read2_b64 v[4:7], v9 offset0:32 offset1:80
	v_add_u32_e32 v0, 0xf0, v36
	v_mov_b32_e32 v1, v37
	v_lshl_add_u64 v[0:1], v[0:1], 3, v[38:39]
	global_store_dwordx2 v[0:1], v[2:3], off
	v_add_u32_e32 v0, 0x120, v36
	v_mov_b32_e32 v1, v37
	v_lshl_add_u64 v[0:1], v[0:1], 3, v[38:39]
	s_waitcnt lgkmcnt(0)
	global_store_dwordx2 v[0:1], v[4:5], off
	v_add_u32_e32 v0, 0x150, v36
	v_mov_b32_e32 v1, v37
	v_lshl_add_u64 v[4:5], v[0:1], 3, v[38:39]
	ds_read2_b64 v[0:3], v9 offset0:128 offset1:176
	global_store_dwordx2 v[4:5], v[6:7], off
	v_add_u32_e32 v4, 0x180, v36
	v_mov_b32_e32 v5, v37
	v_lshl_add_u64 v[4:5], v[4:5], 3, v[38:39]
	s_waitcnt lgkmcnt(0)
	global_store_dwordx2 v[4:5], v[0:1], off
	v_add_u32_e32 v4, 0xc00, v8
	ds_read2_b64 v[4:7], v4 offset0:96 offset1:144
	v_add_u32_e32 v0, 0x1b0, v36
	v_mov_b32_e32 v1, v37
	v_lshl_add_u64 v[0:1], v[0:1], 3, v[38:39]
	global_store_dwordx2 v[0:1], v[2:3], off
	v_add_u32_e32 v0, 0x1e0, v36
	v_mov_b32_e32 v1, v37
	v_lshl_add_u64 v[0:1], v[0:1], 3, v[38:39]
	s_waitcnt lgkmcnt(0)
	global_store_dwordx2 v[0:1], v[4:5], off
	v_add_u32_e32 v0, 0x210, v36
	v_mov_b32_e32 v1, v37
	v_add_u32_e32 v8, 0x1000, v8
	v_lshl_add_u64 v[4:5], v[0:1], 3, v[38:39]
	ds_read2_b64 v[0:3], v8 offset0:64 offset1:112
	global_store_dwordx2 v[4:5], v[6:7], off
	v_add_u32_e32 v4, 0x240, v36
	v_mov_b32_e32 v5, v37
	v_lshl_add_u64 v[4:5], v[4:5], 3, v[38:39]
	s_waitcnt lgkmcnt(0)
	global_store_dwordx2 v[4:5], v[0:1], off
	ds_read2_b64 v[4:7], v8 offset0:160 offset1:208
	v_add_u32_e32 v0, 0x270, v36
	v_mov_b32_e32 v1, v37
	v_lshl_add_u64 v[0:1], v[0:1], 3, v[38:39]
	global_store_dwordx2 v[0:1], v[2:3], off
	v_add_u32_e32 v0, 0x2a0, v36
	v_mov_b32_e32 v1, v37
	v_lshl_add_u64 v[0:1], v[0:1], 3, v[38:39]
	v_add_u32_e32 v36, 0x2d0, v36
	s_waitcnt lgkmcnt(0)
	global_store_dwordx2 v[0:1], v[4:5], off
	v_lshl_add_u64 v[0:1], v[36:37], 3, v[38:39]
	global_store_dwordx2 v[0:1], v[6:7], off
.LBB0_23:
	s_endpgm
	.section	.rodata,"a",@progbits
	.p2align	6, 0x0
	.amdhsa_kernel fft_rtc_back_len768_factors_16_3_16_wgs_48_tpt_48_halfLds_sp_ip_CI_unitstride_sbrr_C2R_dirReg
		.amdhsa_group_segment_fixed_size 0
		.amdhsa_private_segment_fixed_size 0
		.amdhsa_kernarg_size 88
		.amdhsa_user_sgpr_count 2
		.amdhsa_user_sgpr_dispatch_ptr 0
		.amdhsa_user_sgpr_queue_ptr 0
		.amdhsa_user_sgpr_kernarg_segment_ptr 1
		.amdhsa_user_sgpr_dispatch_id 0
		.amdhsa_user_sgpr_kernarg_preload_length 0
		.amdhsa_user_sgpr_kernarg_preload_offset 0
		.amdhsa_user_sgpr_private_segment_size 0
		.amdhsa_uses_dynamic_stack 0
		.amdhsa_enable_private_segment 0
		.amdhsa_system_sgpr_workgroup_id_x 1
		.amdhsa_system_sgpr_workgroup_id_y 0
		.amdhsa_system_sgpr_workgroup_id_z 0
		.amdhsa_system_sgpr_workgroup_info 0
		.amdhsa_system_vgpr_workitem_id 0
		.amdhsa_next_free_vgpr 71
		.amdhsa_next_free_sgpr 22
		.amdhsa_accum_offset 72
		.amdhsa_reserve_vcc 1
		.amdhsa_float_round_mode_32 0
		.amdhsa_float_round_mode_16_64 0
		.amdhsa_float_denorm_mode_32 3
		.amdhsa_float_denorm_mode_16_64 3
		.amdhsa_dx10_clamp 1
		.amdhsa_ieee_mode 1
		.amdhsa_fp16_overflow 0
		.amdhsa_tg_split 0
		.amdhsa_exception_fp_ieee_invalid_op 0
		.amdhsa_exception_fp_denorm_src 0
		.amdhsa_exception_fp_ieee_div_zero 0
		.amdhsa_exception_fp_ieee_overflow 0
		.amdhsa_exception_fp_ieee_underflow 0
		.amdhsa_exception_fp_ieee_inexact 0
		.amdhsa_exception_int_div_zero 0
	.end_amdhsa_kernel
	.text
.Lfunc_end0:
	.size	fft_rtc_back_len768_factors_16_3_16_wgs_48_tpt_48_halfLds_sp_ip_CI_unitstride_sbrr_C2R_dirReg, .Lfunc_end0-fft_rtc_back_len768_factors_16_3_16_wgs_48_tpt_48_halfLds_sp_ip_CI_unitstride_sbrr_C2R_dirReg
                                        ; -- End function
	.section	.AMDGPU.csdata,"",@progbits
; Kernel info:
; codeLenInByte = 7556
; NumSgprs: 28
; NumVgprs: 71
; NumAgprs: 0
; TotalNumVgprs: 71
; ScratchSize: 0
; MemoryBound: 0
; FloatMode: 240
; IeeeMode: 1
; LDSByteSize: 0 bytes/workgroup (compile time only)
; SGPRBlocks: 3
; VGPRBlocks: 8
; NumSGPRsForWavesPerEU: 28
; NumVGPRsForWavesPerEU: 71
; AccumOffset: 72
; Occupancy: 7
; WaveLimiterHint : 1
; COMPUTE_PGM_RSRC2:SCRATCH_EN: 0
; COMPUTE_PGM_RSRC2:USER_SGPR: 2
; COMPUTE_PGM_RSRC2:TRAP_HANDLER: 0
; COMPUTE_PGM_RSRC2:TGID_X_EN: 1
; COMPUTE_PGM_RSRC2:TGID_Y_EN: 0
; COMPUTE_PGM_RSRC2:TGID_Z_EN: 0
; COMPUTE_PGM_RSRC2:TIDIG_COMP_CNT: 0
; COMPUTE_PGM_RSRC3_GFX90A:ACCUM_OFFSET: 17
; COMPUTE_PGM_RSRC3_GFX90A:TG_SPLIT: 0
	.text
	.p2alignl 6, 3212836864
	.fill 256, 4, 3212836864
	.type	__hip_cuid_954812668ce25708,@object ; @__hip_cuid_954812668ce25708
	.section	.bss,"aw",@nobits
	.globl	__hip_cuid_954812668ce25708
__hip_cuid_954812668ce25708:
	.byte	0                               ; 0x0
	.size	__hip_cuid_954812668ce25708, 1

	.ident	"AMD clang version 19.0.0git (https://github.com/RadeonOpenCompute/llvm-project roc-6.4.0 25133 c7fe45cf4b819c5991fe208aaa96edf142730f1d)"
	.section	".note.GNU-stack","",@progbits
	.addrsig
	.addrsig_sym __hip_cuid_954812668ce25708
	.amdgpu_metadata
---
amdhsa.kernels:
  - .agpr_count:     0
    .args:
      - .actual_access:  read_only
        .address_space:  global
        .offset:         0
        .size:           8
        .value_kind:     global_buffer
      - .offset:         8
        .size:           8
        .value_kind:     by_value
      - .actual_access:  read_only
        .address_space:  global
        .offset:         16
        .size:           8
        .value_kind:     global_buffer
      - .actual_access:  read_only
        .address_space:  global
        .offset:         24
        .size:           8
        .value_kind:     global_buffer
      - .offset:         32
        .size:           8
        .value_kind:     by_value
      - .actual_access:  read_only
        .address_space:  global
        .offset:         40
        .size:           8
        .value_kind:     global_buffer
      - .actual_access:  read_only
        .address_space:  global
        .offset:         48
        .size:           8
        .value_kind:     global_buffer
      - .offset:         56
        .size:           4
        .value_kind:     by_value
      - .actual_access:  read_only
        .address_space:  global
        .offset:         64
        .size:           8
        .value_kind:     global_buffer
      - .actual_access:  read_only
        .address_space:  global
        .offset:         72
        .size:           8
        .value_kind:     global_buffer
      - .address_space:  global
        .offset:         80
        .size:           8
        .value_kind:     global_buffer
    .group_segment_fixed_size: 0
    .kernarg_segment_align: 8
    .kernarg_segment_size: 88
    .language:       OpenCL C
    .language_version:
      - 2
      - 0
    .max_flat_workgroup_size: 48
    .name:           fft_rtc_back_len768_factors_16_3_16_wgs_48_tpt_48_halfLds_sp_ip_CI_unitstride_sbrr_C2R_dirReg
    .private_segment_fixed_size: 0
    .sgpr_count:     28
    .sgpr_spill_count: 0
    .symbol:         fft_rtc_back_len768_factors_16_3_16_wgs_48_tpt_48_halfLds_sp_ip_CI_unitstride_sbrr_C2R_dirReg.kd
    .uniform_work_group_size: 1
    .uses_dynamic_stack: false
    .vgpr_count:     71
    .vgpr_spill_count: 0
    .wavefront_size: 64
amdhsa.target:   amdgcn-amd-amdhsa--gfx950
amdhsa.version:
  - 1
  - 2
...

	.end_amdgpu_metadata
